;; amdgpu-corpus repo=ROCm/rocFFT kind=compiled arch=gfx1030 opt=O3
	.text
	.amdgcn_target "amdgcn-amd-amdhsa--gfx1030"
	.amdhsa_code_object_version 6
	.protected	fft_rtc_back_len55_factors_5_11_wgs_66_tpt_11_dim1_sp_ip_CI_sbrr_dirReg ; -- Begin function fft_rtc_back_len55_factors_5_11_wgs_66_tpt_11_dim1_sp_ip_CI_sbrr_dirReg
	.globl	fft_rtc_back_len55_factors_5_11_wgs_66_tpt_11_dim1_sp_ip_CI_sbrr_dirReg
	.p2align	8
	.type	fft_rtc_back_len55_factors_5_11_wgs_66_tpt_11_dim1_sp_ip_CI_sbrr_dirReg,@function
fft_rtc_back_len55_factors_5_11_wgs_66_tpt_11_dim1_sp_ip_CI_sbrr_dirReg: ; @fft_rtc_back_len55_factors_5_11_wgs_66_tpt_11_dim1_sp_ip_CI_sbrr_dirReg
; %bb.0:
	s_clause 0x1
	s_load_dwordx4 s[12:15], s[4:5], 0x10
	s_load_dwordx2 s[2:3], s[4:5], 0x48
	v_mul_u32_u24_e32 v1, 0x1746, v0
                                        ; implicit-def: $vgpr9
                                        ; implicit-def: $vgpr11
	v_lshrrev_b32_e32 v1, 16, v1
	v_mad_u64_u32 v[3:4], null, s6, 6, v[1:2]
	v_mul_lo_u16 v1, v1, 11
	v_mov_b32_e32 v4, 0
	v_sub_nc_u16 v0, v0, v1
	s_waitcnt lgkmcnt(0)
	s_load_dwordx4 s[8:11], s[12:13], 0x0
	v_cmp_gt_u64_e32 vcc_lo, s[14:15], v[3:4]
                                        ; implicit-def: $vgpr1
	v_and_b32_e32 v46, 0xffff, v0
	s_waitcnt lgkmcnt(0)
	v_mad_u64_u32 v[5:6], null, s10, v3, 0
	v_mov_b32_e32 v2, v6
	v_mad_u64_u32 v[6:7], null, s11, v3, v[2:3]
                                        ; implicit-def: $vgpr7
	v_lshlrev_b64 v[42:43], 3, v[5:6]
                                        ; implicit-def: $vgpr5
	s_and_saveexec_b32 s1, vcc_lo
	s_cbranch_execz .LBB0_2
; %bb.1:
	v_add_nc_u32_e32 v10, 11, v46
	v_add_nc_u32_e32 v12, 22, v46
	v_mad_u64_u32 v[0:1], null, s8, v46, 0
	v_add_nc_u32_e32 v14, 33, v46
	v_mad_u64_u32 v[4:5], null, s8, v10, 0
	v_mad_u64_u32 v[6:7], null, s8, v12, 0
	v_add_nc_u32_e32 v15, 44, v46
	v_mad_u64_u32 v[1:2], null, s9, v46, v[1:2]
	v_mad_u64_u32 v[8:9], null, s8, v14, 0
	v_mov_b32_e32 v2, v5
	v_mov_b32_e32 v5, v7
	v_add_co_u32 v16, s0, s2, v42
	v_lshlrev_b64 v[0:1], 3, v[0:1]
	v_mad_u64_u32 v[10:11], null, s9, v10, v[2:3]
	v_mad_u64_u32 v[11:12], null, s9, v12, v[5:6]
	;; [unrolled: 1-line block ×3, first 2 shown]
	v_mov_b32_e32 v2, v9
	v_add_co_ci_u32_e64 v17, s0, s3, v43, s0
	v_mov_b32_e32 v5, v10
	v_mov_b32_e32 v7, v11
	v_mad_u64_u32 v[9:10], null, s9, v14, v[2:3]
	v_mov_b32_e32 v2, v13
	v_lshlrev_b64 v[4:5], 3, v[4:5]
	v_add_co_u32 v0, s0, v16, v0
	v_lshlrev_b64 v[6:7], 3, v[6:7]
	v_mad_u64_u32 v[10:11], null, s9, v15, v[2:3]
	v_add_co_ci_u32_e64 v1, s0, v17, v1, s0
	v_add_co_u32 v4, s0, v16, v4
	v_lshlrev_b64 v[8:9], 3, v[8:9]
	v_add_co_ci_u32_e64 v5, s0, v17, v5, s0
	v_mov_b32_e32 v13, v10
	v_add_co_u32 v6, s0, v16, v6
	v_add_co_ci_u32_e64 v7, s0, v17, v7, s0
	v_lshlrev_b64 v[10:11], 3, v[12:13]
	v_add_co_u32 v8, s0, v16, v8
	v_add_co_ci_u32_e64 v9, s0, v17, v9, s0
	v_add_co_u32 v10, s0, v16, v10
	v_add_co_ci_u32_e64 v11, s0, v17, v11, s0
	s_clause 0x4
	global_load_dwordx2 v[0:1], v[0:1], off
	global_load_dwordx2 v[4:5], v[4:5], off
	;; [unrolled: 1-line block ×5, first 2 shown]
.LBB0_2:
	s_or_b32 exec_lo, exec_lo, s1
	v_mul_hi_u32 v2, 0xaaaaaaab, v3
	s_waitcnt vmcnt(3)
	v_add_f32_e32 v12, v0, v4
	s_waitcnt vmcnt(1)
	v_add_f32_e32 v13, v6, v8
	s_waitcnt vmcnt(0)
	v_sub_f32_e32 v14, v5, v11
	v_add_f32_e32 v18, v4, v10
	v_sub_f32_e32 v15, v7, v9
	v_add_f32_e32 v12, v12, v6
	v_sub_f32_e32 v16, v4, v6
	v_lshrrev_b32_e32 v19, 2, v2
	v_fma_f32 v2, -0.5, v13, v0
	v_fmac_f32_e32 v0, -0.5, v18
	v_add_f32_e32 v12, v12, v8
	v_sub_f32_e32 v17, v10, v8
	v_mul_lo_u32 v19, v19, 6
	v_fmamk_f32 v36, v14, 0xbf737871, v2
	v_fmac_f32_e32 v2, 0x3f737871, v14
	v_sub_f32_e32 v20, v6, v4
	v_sub_f32_e32 v13, v8, v10
	v_fmamk_f32 v34, v15, 0x3f737871, v0
	v_fmac_f32_e32 v36, 0xbf167918, v15
	v_fmac_f32_e32 v0, 0xbf737871, v15
	v_sub_nc_u32_e32 v3, v3, v19
	v_add_f32_e32 v32, v12, v10
	v_fmac_f32_e32 v2, 0x3f167918, v15
	v_add_f32_e32 v15, v7, v9
	v_sub_f32_e32 v10, v4, v10
	v_mul_u32_u24_e32 v12, 55, v3
	v_add_f32_e32 v3, v1, v5
	v_add_f32_e32 v4, v5, v11
	v_fmac_f32_e32 v34, 0xbf167918, v14
	v_fmac_f32_e32 v0, 0x3f167918, v14
	v_sub_f32_e32 v6, v6, v8
	v_add_f32_e32 v14, v3, v7
	v_fma_f32 v3, -0.5, v15, v1
	v_fmac_f32_e32 v1, -0.5, v4
	v_sub_f32_e32 v4, v5, v7
	v_sub_f32_e32 v8, v11, v9
	;; [unrolled: 1-line block ×3, first 2 shown]
	v_fmamk_f32 v37, v10, 0x3f737871, v3
	v_fmamk_f32 v35, v6, 0xbf737871, v1
	v_sub_f32_e32 v7, v9, v11
	v_fmac_f32_e32 v1, 0x3f737871, v6
	v_fmac_f32_e32 v3, 0xbf737871, v10
	v_add_f32_e32 v16, v16, v17
	v_add_f32_e32 v13, v20, v13
	;; [unrolled: 1-line block ×3, first 2 shown]
	v_fmac_f32_e32 v37, 0x3f167918, v6
	v_add_f32_e32 v8, v4, v8
	v_fmac_f32_e32 v35, 0x3f167918, v10
	v_add_f32_e32 v5, v5, v7
	v_mad_u32_u24 v4, v46, 40, 0
	v_fmac_f32_e32 v1, 0xbf167918, v10
	v_fmac_f32_e32 v3, 0xbf167918, v6
	;; [unrolled: 1-line block ×5, first 2 shown]
	v_add_f32_e32 v33, v14, v11
	v_fmac_f32_e32 v37, 0x3e9e377a, v8
	v_fmac_f32_e32 v35, 0x3e9e377a, v5
	v_lshl_add_u32 v6, v12, 3, v4
	v_fmac_f32_e32 v1, 0x3e9e377a, v5
	v_fmac_f32_e32 v2, 0x3e9e377a, v16
	;; [unrolled: 1-line block ×3, first 2 shown]
	v_cmp_gt_u16_e64 s0, 5, v46
	ds_write2_b64 v6, v[32:33], v[36:37] offset1:1
	ds_write2_b64 v6, v[34:35], v[0:1] offset0:2 offset1:3
                                        ; implicit-def: $vgpr41
                                        ; implicit-def: $vgpr11
                                        ; implicit-def: $vgpr39
                                        ; implicit-def: $vgpr7
	ds_write_b64 v6, v[2:3] offset:32
	s_waitcnt lgkmcnt(0)
	s_barrier
	buffer_gl0_inv
	s_and_saveexec_b32 s1, s0
	s_cbranch_execnz .LBB0_5
; %bb.3:
	s_or_b32 exec_lo, exec_lo, s1
	s_and_b32 s0, vcc_lo, s0
	s_and_saveexec_b32 s1, s0
	s_cbranch_execnz .LBB0_6
.LBB0_4:
	s_endpgm
.LBB0_5:
	v_lshlrev_b32_e32 v0, 5, v46
	v_lshlrev_b32_e32 v5, 3, v12
	v_sub_nc_u32_e32 v0, v4, v0
	v_lshlrev_b32_e32 v4, 3, v46
	v_add_nc_u32_e32 v16, v0, v5
	v_add3_u32 v4, 0, v5, v4
	ds_read2_b64 v[0:3], v16 offset0:15 offset1:20
	ds_read2_b64 v[12:15], v16 offset0:5 offset1:10
	ds_read_b64 v[32:33], v4
	ds_read2_b64 v[4:7], v16 offset0:25 offset1:30
	ds_read2_b64 v[8:11], v16 offset0:40 offset1:45
	ds_read2_b32 v[38:39], v16 offset0:70 offset1:71
	ds_read_b64 v[40:41], v16 offset:400
	s_waitcnt lgkmcnt(5)
	v_mov_b32_e32 v35, v15
	v_mov_b32_e32 v34, v14
	;; [unrolled: 1-line block ×4, first 2 shown]
	s_or_b32 exec_lo, exec_lo, s1
	s_and_b32 s0, vcc_lo, s0
	s_and_saveexec_b32 s1, s0
	s_cbranch_execz .LBB0_4
.LBB0_6:
	v_and_b32_e32 v12, 0xff, v46
	s_load_dwordx2 s[0:1], s[4:5], 0x0
	v_add_nc_u32_e32 v47, 5, v46
	v_add_nc_u32_e32 v48, 10, v46
	;; [unrolled: 1-line block ×3, first 2 shown]
	v_mul_lo_u16 v12, 0xcd, v12
	v_add_nc_u32_e32 v50, 20, v46
	v_add_nc_u32_e32 v51, 25, v46
	v_mad_u64_u32 v[44:45], null, s8, v46, 0
	v_lshrrev_b16 v12, 10, v12
	v_mad_u64_u32 v[52:53], null, s8, v47, 0
	v_mad_u64_u32 v[54:55], null, s8, v48, 0
	v_mul_lo_u16 v12, v12, 5
	v_mad_u64_u32 v[56:57], null, s8, v49, 0
	v_mad_u64_u32 v[58:59], null, s8, v50, 0
	v_sub_nc_u16 v12, v46, v12
	v_mad_u64_u32 v[60:61], null, s8, v51, 0
	v_mad_u64_u32 v[62:63], null, s9, v46, v[45:46]
	v_mul_lo_u16 v12, v12, 10
	v_mov_b32_e32 v45, v59
	v_mad_u64_u32 v[63:64], null, s9, v47, v[53:54]
	v_mad_u64_u32 v[47:48], null, s9, v48, v[55:56]
	v_and_b32_e32 v12, 0xfe, v12
	v_mov_b32_e32 v59, v61
	v_mad_u64_u32 v[48:49], null, s9, v49, v[57:58]
	v_mad_u64_u32 v[49:50], null, s9, v50, v[45:46]
	v_lshlrev_b32_e32 v12, 3, v12
	v_mad_u64_u32 v[50:51], null, s9, v51, v[59:60]
	s_waitcnt lgkmcnt(0)
	s_clause 0x4
	global_load_dwordx4 v[28:31], v12, s[0:1]
	global_load_dwordx4 v[24:27], v12, s[0:1] offset:64
	global_load_dwordx4 v[16:19], v12, s[0:1] offset:48
	;; [unrolled: 1-line block ×4, first 2 shown]
	v_mov_b32_e32 v53, v63
	v_mov_b32_e32 v55, v47
	;; [unrolled: 1-line block ×5, first 2 shown]
	v_lshlrev_b64 v[47:48], 3, v[52:53]
	v_lshlrev_b64 v[49:50], 3, v[54:55]
	;; [unrolled: 1-line block ×3, first 2 shown]
	v_mov_b32_e32 v45, v62
	v_lshlrev_b64 v[53:54], 3, v[58:59]
	v_add_co_u32 v42, vcc_lo, s2, v42
	v_add_co_ci_u32_e32 v43, vcc_lo, s3, v43, vcc_lo
	v_lshlrev_b64 v[44:45], 3, v[44:45]
	v_add_nc_u32_e32 v66, 30, v46
	v_add_co_u32 v44, vcc_lo, v42, v44
	v_add_co_ci_u32_e32 v45, vcc_lo, v43, v45, vcc_lo
	v_add_co_u32 v47, vcc_lo, v42, v47
	v_add_co_ci_u32_e32 v48, vcc_lo, v43, v48, vcc_lo
	v_add_co_u32 v49, vcc_lo, v42, v49
	v_mad_u64_u32 v[64:65], null, s8, v66, 0
	v_add_co_ci_u32_e32 v50, vcc_lo, v43, v50, vcc_lo
	v_add_co_u32 v51, vcc_lo, v42, v51
	v_add_co_ci_u32_e32 v52, vcc_lo, v43, v52, vcc_lo
	v_add_co_u32 v53, vcc_lo, v42, v53
	v_add_co_ci_u32_e32 v54, vcc_lo, v43, v54, vcc_lo
	s_waitcnt vmcnt(4)
	v_mul_f32_e32 v55, v36, v29
	v_mul_f32_e32 v29, v37, v29
	;; [unrolled: 1-line block ×4, first 2 shown]
	s_waitcnt vmcnt(3)
	v_mul_f32_e32 v57, v40, v27
	v_mul_f32_e32 v27, v41, v27
	;; [unrolled: 1-line block ×4, first 2 shown]
	s_waitcnt vmcnt(2)
	v_mul_f32_e32 v59, v8, v19
	s_waitcnt vmcnt(1)
	v_mul_f32_e32 v62, v0, v21
	v_mul_f32_e32 v21, v1, v21
	;; [unrolled: 1-line block ×5, first 2 shown]
	s_waitcnt vmcnt(0)
	v_mul_f32_e32 v68, v6, v15
	v_mul_f32_e32 v69, v4, v13
	;; [unrolled: 1-line block ×4, first 2 shown]
	v_fma_f32 v37, v37, v28, -v55
	v_fmac_f32_e32 v29, v36, v28
	v_fma_f32 v28, v35, v30, -v56
	v_fmac_f32_e32 v31, v34, v30
	v_fma_f32 v30, v41, v26, -v57
	v_mul_f32_e32 v19, v9, v19
	v_mul_f32_e32 v17, v39, v17
	v_fmac_f32_e32 v27, v40, v26
	v_fma_f32 v26, v11, v24, -v58
	v_fmac_f32_e32 v25, v10, v24
	v_fma_f32 v10, v9, v18, -v59
	v_fma_f32 v1, v1, v20, -v62
	v_fmac_f32_e32 v21, v0, v20
	v_fma_f32 v0, v39, v16, -v63
	;; [unrolled: 3-line block ×3, first 2 shown]
	v_fma_f32 v5, v5, v12, -v69
	v_fmac_f32_e32 v13, v4, v12
	v_fmac_f32_e32 v15, v6, v14
	v_add_f32_e32 v4, v30, v37
	v_sub_f32_e32 v9, v37, v30
	v_add_f32_e32 v12, v33, v37
	v_add_f32_e32 v14, v32, v29
	v_fmac_f32_e32 v19, v8, v18
	v_fmac_f32_e32 v17, v38, v16
	v_sub_f32_e32 v6, v29, v27
	v_add_f32_e32 v7, v26, v28
	v_add_f32_e32 v11, v27, v29
	v_sub_f32_e32 v16, v28, v26
	v_add_f32_e32 v20, v10, v1
	v_add_f32_e32 v24, v0, v3
	;; [unrolled: 1-line block ×3, first 2 shown]
	v_sub_f32_e32 v36, v1, v10
	v_sub_f32_e32 v38, v3, v0
	;; [unrolled: 1-line block ×3, first 2 shown]
	v_mul_f32_e32 v55, 0xbf75a155, v4
	v_mul_f32_e32 v56, 0xbe903f40, v9
	;; [unrolled: 1-line block ×9, first 2 shown]
	v_add_f32_e32 v12, v12, v28
	v_add_f32_e32 v14, v14, v31
	v_sub_f32_e32 v8, v31, v25
	v_add_f32_e32 v18, v25, v31
	v_sub_f32_e32 v22, v21, v19
	v_sub_f32_e32 v29, v23, v17
	;; [unrolled: 1-line block ×3, first 2 shown]
	v_add_f32_e32 v37, v19, v21
	v_add_f32_e32 v39, v17, v23
	;; [unrolled: 1-line block ×3, first 2 shown]
	v_mul_f32_e32 v9, 0xbf0a6770, v9
	v_mul_f32_e32 v68, 0x3f575c64, v7
	;; [unrolled: 1-line block ×41, first 2 shown]
	v_fmamk_f32 v98, v6, 0x3e903f40, v55
	v_fmamk_f32 v99, v11, 0xbf75a155, v56
	v_fmamk_f32 v100, v6, 0x3f4178ce, v57
	v_fmamk_f32 v101, v11, 0xbf27a4f4, v58
	v_fmamk_f32 v102, v6, 0x3f7d64f0, v59
	v_fmamk_f32 v103, v11, 0xbe11bafb, v62
	v_fmamk_f32 v104, v6, 0x3f68dda4, v63
	v_fmamk_f32 v105, v11, 0x3ed4b147, v67
	v_fmamk_f32 v106, v6, 0x3f0a6770, v4
	v_add_f32_e32 v1, v12, v1
	v_add_f32_e32 v12, v14, v21
	v_fmac_f32_e32 v55, 0xbe903f40, v6
	v_fmac_f32_e32 v57, 0xbf4178ce, v6
	;; [unrolled: 1-line block ×5, first 2 shown]
	v_fmamk_f32 v6, v11, 0x3f575c64, v9
	v_fma_f32 v56, 0xbf75a155, v11, -v56
	v_fma_f32 v58, 0xbf27a4f4, v11, -v58
	;; [unrolled: 1-line block ×5, first 2 shown]
	v_fmamk_f32 v11, v8, 0xbf0a6770, v68
	v_fmamk_f32 v107, v18, 0x3f575c64, v69
	v_fmamk_f32 v108, v22, 0x3f4178ce, v70
	v_fmamk_f32 v109, v29, 0xbf68dda4, v71
	v_fmamk_f32 v110, v35, 0x3f7d64f0, v72
	v_fmamk_f32 v111, v8, 0xbf7d64f0, v73
	v_fmamk_f32 v112, v22, 0x3f0a6770, v75
	v_fmamk_f32 v113, v29, 0x3e903f40, v76
	v_fmamk_f32 v114, v35, 0xbf68dda4, v77
	v_fmac_f32_e32 v68, 0x3f0a6770, v8
	v_fmac_f32_e32 v73, 0x3f7d64f0, v8
	v_fmamk_f32 v115, v8, 0xbe903f40, v28
	v_fmac_f32_e32 v28, 0x3e903f40, v8
	v_fmamk_f32 v116, v8, 0x3f4178ce, v31
	v_fmac_f32_e32 v31, 0xbf4178ce, v8
	v_fmamk_f32 v117, v8, 0x3f68dda4, v7
	v_fmac_f32_e32 v7, 0xbf68dda4, v8
	v_fmac_f32_e32 v70, 0xbf4178ce, v22
	v_fmac_f32_e32 v75, 0xbf0a6770, v22
	v_fmamk_f32 v8, v22, 0xbf68dda4, v78
	v_fmac_f32_e32 v78, 0x3f68dda4, v22
	v_fmamk_f32 v118, v22, 0xbe903f40, v79
	v_fmac_f32_e32 v79, 0x3e903f40, v22
	v_fmamk_f32 v119, v22, 0x3f7d64f0, v20
	v_fmac_f32_e32 v20, 0xbf7d64f0, v22
	;; [unrolled: 8-line block ×4, first 2 shown]
	v_fmamk_f32 v35, v18, 0xbe11bafb, v74
	v_fma_f32 v69, 0x3f575c64, v18, -v69
	v_fma_f32 v74, 0xbe11bafb, v18, -v74
	v_fmamk_f32 v124, v18, 0xbf75a155, v84
	v_fma_f32 v84, 0xbf75a155, v18, -v84
	v_fmamk_f32 v125, v18, 0xbf27a4f4, v85
	;; [unrolled: 2-line block ×18, first 2 shown]
	v_fma_f32 v40, 0xbf75a155, v41, -v40
	v_add_f32_e32 v41, v33, v98
	v_add_f32_e32 v98, v32, v99
	;; [unrolled: 1-line block ×78, first 2 shown]
	v_or_b32_e32 v24, 40, v46
	v_add_f32_e32 v36, v5, v90
	v_add_f32_e32 v1, v9, v110
	;; [unrolled: 1-line block ×8, first 2 shown]
	global_store_dwordx2 v[44:45], v[16:17], off
	global_store_dwordx2 v[47:48], v[8:9], off
	;; [unrolled: 1-line block ×4, first 2 shown]
	v_mad_u64_u32 v[7:8], null, s8, v24, 0
	v_mov_b32_e32 v6, v65
	v_add_nc_u32_e32 v9, 35, v46
	global_store_dwordx2 v[53:54], v[2:3], off
	v_lshlrev_b64 v[2:3], 3, v[60:61]
	v_add_nc_u32_e32 v25, 45, v46
	v_add_nc_u32_e32 v26, 50, v46
	v_mad_u64_u32 v[16:17], null, s9, v66, v[6:7]
	v_mad_u64_u32 v[4:5], null, s8, v9, 0
	v_add_co_u32 v2, vcc_lo, v42, v2
	v_mad_u64_u32 v[22:23], null, s8, v25, 0
	v_add_f32_e32 v0, v11, v39
	v_add_co_ci_u32_e32 v3, vcc_lo, v43, v3, vcc_lo
	v_mov_b32_e32 v65, v16
	v_mad_u64_u32 v[16:17], null, s8, v26, 0
	v_mad_u64_u32 v[5:6], null, s9, v9, v[5:6]
	global_store_dwordx2 v[2:3], v[0:1], off
	v_lshlrev_b64 v[1:2], 3, v[64:65]
	v_mov_b32_e32 v6, v8
	v_mov_b32_e32 v0, v23
	v_add_f32_e32 v55, v57, v73
	v_add_f32_e32 v56, v58, v74
	v_lshlrev_b64 v[3:4], 3, v[4:5]
	v_mad_u64_u32 v[8:9], null, s9, v24, v[6:7]
	v_mad_u64_u32 v[23:24], null, s9, v25, v[0:1]
	v_mov_b32_e32 v0, v17
	v_add_co_u32 v1, vcc_lo, v42, v1
	v_add_f32_e32 v28, v59, v28
	v_add_f32_e32 v57, v62, v84
	;; [unrolled: 1-line block ×3, first 2 shown]
	v_mad_u64_u32 v[5:6], null, s9, v26, v[0:1]
	v_add_f32_e32 v58, v67, v85
	v_lshlrev_b64 v[6:7], 3, v[7:8]
	v_add_f32_e32 v13, v55, v75
	v_add_f32_e32 v15, v56, v86
	;; [unrolled: 1-line block ×4, first 2 shown]
	v_mov_b32_e32 v17, v5
	v_add_co_ci_u32_e32 v2, vcc_lo, v43, v2, vcc_lo
	v_add_f32_e32 v31, v31, v79
	v_add_f32_e32 v33, v58, v89
	v_add_co_u32 v3, vcc_lo, v42, v3
	v_lshlrev_b64 v[8:9], 3, v[22:23]
	v_add_co_ci_u32_e32 v4, vcc_lo, v43, v4, vcc_lo
	v_add_f32_e32 v13, v13, v76
	v_add_f32_e32 v15, v15, v91
	v_add_co_u32 v5, vcc_lo, v42, v6
	v_lshlrev_b64 v[16:17], 3, v[16:17]
	v_add_f32_e32 v18, v18, v80
	v_add_f32_e32 v28, v28, v92
	;; [unrolled: 1-line block ×4, first 2 shown]
	v_add_co_ci_u32_e32 v6, vcc_lo, v43, v7, vcc_lo
	v_add_co_u32 v7, vcc_lo, v42, v8
	v_add_f32_e32 v11, v35, v72
	v_add_f32_e32 v10, v36, v94
	;; [unrolled: 1-line block ×4, first 2 shown]
	v_add_co_ci_u32_e32 v8, vcc_lo, v43, v9, vcc_lo
	v_add_f32_e32 v15, v18, v82
	v_add_f32_e32 v14, v28, v96
	v_add_co_u32 v16, vcc_lo, v42, v16
	v_add_f32_e32 v19, v31, v83
	v_add_f32_e32 v18, v33, v97
	;; [unrolled: 1-line block ×3, first 2 shown]
	v_add_co_ci_u32_e32 v17, vcc_lo, v43, v17, vcc_lo
	global_store_dwordx2 v[1:2], v[10:11], off
	global_store_dwordx2 v[3:4], v[12:13], off
	;; [unrolled: 1-line block ×5, first 2 shown]
	s_endpgm
	.section	.rodata,"a",@progbits
	.p2align	6, 0x0
	.amdhsa_kernel fft_rtc_back_len55_factors_5_11_wgs_66_tpt_11_dim1_sp_ip_CI_sbrr_dirReg
		.amdhsa_group_segment_fixed_size 0
		.amdhsa_private_segment_fixed_size 0
		.amdhsa_kernarg_size 80
		.amdhsa_user_sgpr_count 6
		.amdhsa_user_sgpr_private_segment_buffer 1
		.amdhsa_user_sgpr_dispatch_ptr 0
		.amdhsa_user_sgpr_queue_ptr 0
		.amdhsa_user_sgpr_kernarg_segment_ptr 1
		.amdhsa_user_sgpr_dispatch_id 0
		.amdhsa_user_sgpr_flat_scratch_init 0
		.amdhsa_user_sgpr_private_segment_size 0
		.amdhsa_wavefront_size32 1
		.amdhsa_uses_dynamic_stack 0
		.amdhsa_system_sgpr_private_segment_wavefront_offset 0
		.amdhsa_system_sgpr_workgroup_id_x 1
		.amdhsa_system_sgpr_workgroup_id_y 0
		.amdhsa_system_sgpr_workgroup_id_z 0
		.amdhsa_system_sgpr_workgroup_info 0
		.amdhsa_system_vgpr_workitem_id 0
		.amdhsa_next_free_vgpr 137
		.amdhsa_next_free_sgpr 16
		.amdhsa_reserve_vcc 1
		.amdhsa_reserve_flat_scratch 0
		.amdhsa_float_round_mode_32 0
		.amdhsa_float_round_mode_16_64 0
		.amdhsa_float_denorm_mode_32 3
		.amdhsa_float_denorm_mode_16_64 3
		.amdhsa_dx10_clamp 1
		.amdhsa_ieee_mode 1
		.amdhsa_fp16_overflow 0
		.amdhsa_workgroup_processor_mode 1
		.amdhsa_memory_ordered 1
		.amdhsa_forward_progress 0
		.amdhsa_shared_vgpr_count 0
		.amdhsa_exception_fp_ieee_invalid_op 0
		.amdhsa_exception_fp_denorm_src 0
		.amdhsa_exception_fp_ieee_div_zero 0
		.amdhsa_exception_fp_ieee_overflow 0
		.amdhsa_exception_fp_ieee_underflow 0
		.amdhsa_exception_fp_ieee_inexact 0
		.amdhsa_exception_int_div_zero 0
	.end_amdhsa_kernel
	.text
.Lfunc_end0:
	.size	fft_rtc_back_len55_factors_5_11_wgs_66_tpt_11_dim1_sp_ip_CI_sbrr_dirReg, .Lfunc_end0-fft_rtc_back_len55_factors_5_11_wgs_66_tpt_11_dim1_sp_ip_CI_sbrr_dirReg
                                        ; -- End function
	.section	.AMDGPU.csdata,"",@progbits
; Kernel info:
; codeLenInByte = 3812
; NumSgprs: 18
; NumVgprs: 137
; ScratchSize: 0
; MemoryBound: 0
; FloatMode: 240
; IeeeMode: 1
; LDSByteSize: 0 bytes/workgroup (compile time only)
; SGPRBlocks: 2
; VGPRBlocks: 17
; NumSGPRsForWavesPerEU: 18
; NumVGPRsForWavesPerEU: 137
; Occupancy: 7
; WaveLimiterHint : 1
; COMPUTE_PGM_RSRC2:SCRATCH_EN: 0
; COMPUTE_PGM_RSRC2:USER_SGPR: 6
; COMPUTE_PGM_RSRC2:TRAP_HANDLER: 0
; COMPUTE_PGM_RSRC2:TGID_X_EN: 1
; COMPUTE_PGM_RSRC2:TGID_Y_EN: 0
; COMPUTE_PGM_RSRC2:TGID_Z_EN: 0
; COMPUTE_PGM_RSRC2:TIDIG_COMP_CNT: 0
	.text
	.p2alignl 6, 3214868480
	.fill 48, 4, 3214868480
	.type	__hip_cuid_a066c549e7f8b00d,@object ; @__hip_cuid_a066c549e7f8b00d
	.section	.bss,"aw",@nobits
	.globl	__hip_cuid_a066c549e7f8b00d
__hip_cuid_a066c549e7f8b00d:
	.byte	0                               ; 0x0
	.size	__hip_cuid_a066c549e7f8b00d, 1

	.ident	"AMD clang version 19.0.0git (https://github.com/RadeonOpenCompute/llvm-project roc-6.4.0 25133 c7fe45cf4b819c5991fe208aaa96edf142730f1d)"
	.section	".note.GNU-stack","",@progbits
	.addrsig
	.addrsig_sym __hip_cuid_a066c549e7f8b00d
	.amdgpu_metadata
---
amdhsa.kernels:
  - .args:
      - .actual_access:  read_only
        .address_space:  global
        .offset:         0
        .size:           8
        .value_kind:     global_buffer
      - .actual_access:  read_only
        .address_space:  global
        .offset:         8
        .size:           8
        .value_kind:     global_buffer
      - .actual_access:  read_only
        .address_space:  global
        .offset:         16
        .size:           8
        .value_kind:     global_buffer
      - .offset:         24
        .size:           8
        .value_kind:     by_value
      - .actual_access:  read_only
        .address_space:  global
        .offset:         32
        .size:           8
        .value_kind:     global_buffer
      - .actual_access:  read_only
        .address_space:  global
        .offset:         40
        .size:           8
        .value_kind:     global_buffer
      - .offset:         48
        .size:           4
        .value_kind:     by_value
      - .actual_access:  read_only
        .address_space:  global
        .offset:         56
        .size:           8
        .value_kind:     global_buffer
      - .actual_access:  read_only
        .address_space:  global
        .offset:         64
        .size:           8
        .value_kind:     global_buffer
      - .address_space:  global
        .offset:         72
        .size:           8
        .value_kind:     global_buffer
    .group_segment_fixed_size: 0
    .kernarg_segment_align: 8
    .kernarg_segment_size: 80
    .language:       OpenCL C
    .language_version:
      - 2
      - 0
    .max_flat_workgroup_size: 66
    .name:           fft_rtc_back_len55_factors_5_11_wgs_66_tpt_11_dim1_sp_ip_CI_sbrr_dirReg
    .private_segment_fixed_size: 0
    .sgpr_count:     18
    .sgpr_spill_count: 0
    .symbol:         fft_rtc_back_len55_factors_5_11_wgs_66_tpt_11_dim1_sp_ip_CI_sbrr_dirReg.kd
    .uniform_work_group_size: 1
    .uses_dynamic_stack: false
    .vgpr_count:     137
    .vgpr_spill_count: 0
    .wavefront_size: 32
    .workgroup_processor_mode: 1
amdhsa.target:   amdgcn-amd-amdhsa--gfx1030
amdhsa.version:
  - 1
  - 2
...

	.end_amdgpu_metadata
